;; amdgpu-corpus repo=ROCm/rocFFT kind=compiled arch=gfx906 opt=O3
	.text
	.amdgcn_target "amdgcn-amd-amdhsa--gfx906"
	.amdhsa_code_object_version 6
	.protected	fft_rtc_back_len3072_factors_6_4_4_4_4_2_wgs_256_tpt_256_halfLds_sp_ip_CI_sbrr_dirReg ; -- Begin function fft_rtc_back_len3072_factors_6_4_4_4_4_2_wgs_256_tpt_256_halfLds_sp_ip_CI_sbrr_dirReg
	.globl	fft_rtc_back_len3072_factors_6_4_4_4_4_2_wgs_256_tpt_256_halfLds_sp_ip_CI_sbrr_dirReg
	.p2align	8
	.type	fft_rtc_back_len3072_factors_6_4_4_4_4_2_wgs_256_tpt_256_halfLds_sp_ip_CI_sbrr_dirReg,@function
fft_rtc_back_len3072_factors_6_4_4_4_4_2_wgs_256_tpt_256_halfLds_sp_ip_CI_sbrr_dirReg: ; @fft_rtc_back_len3072_factors_6_4_4_4_4_2_wgs_256_tpt_256_halfLds_sp_ip_CI_sbrr_dirReg
; %bb.0:
	s_load_dwordx2 s[14:15], s[4:5], 0x18
	s_load_dwordx4 s[8:11], s[4:5], 0x0
	s_load_dwordx2 s[12:13], s[4:5], 0x50
	v_mov_b32_e32 v3, 0
	v_mov_b32_e32 v1, 0
	s_waitcnt lgkmcnt(0)
	s_load_dwordx2 s[2:3], s[14:15], 0x0
	v_cmp_lt_u64_e64 s[0:1], s[10:11], 2
	v_mov_b32_e32 v5, s6
	v_mov_b32_e32 v6, v3
	s_and_b64 vcc, exec, s[0:1]
	v_mov_b32_e32 v2, 0
	s_cbranch_vccnz .LBB0_8
; %bb.1:
	s_load_dwordx2 s[0:1], s[4:5], 0x10
	s_add_u32 s6, s14, 8
	s_addc_u32 s7, s15, 0
	v_mov_b32_e32 v1, 0
	v_mov_b32_e32 v2, 0
	s_waitcnt lgkmcnt(0)
	s_add_u32 s16, s0, 8
	s_addc_u32 s17, s1, 0
	s_mov_b64 s[18:19], 1
.LBB0_2:                                ; =>This Inner Loop Header: Depth=1
	s_load_dwordx2 s[20:21], s[16:17], 0x0
                                        ; implicit-def: $vgpr7_vgpr8
	s_waitcnt lgkmcnt(0)
	v_or_b32_e32 v4, s21, v6
	v_cmp_ne_u64_e32 vcc, 0, v[3:4]
	s_and_saveexec_b64 s[0:1], vcc
	s_xor_b64 s[22:23], exec, s[0:1]
	s_cbranch_execz .LBB0_4
; %bb.3:                                ;   in Loop: Header=BB0_2 Depth=1
	v_cvt_f32_u32_e32 v4, s20
	v_cvt_f32_u32_e32 v7, s21
	s_sub_u32 s0, 0, s20
	s_subb_u32 s1, 0, s21
	v_mac_f32_e32 v4, 0x4f800000, v7
	v_rcp_f32_e32 v4, v4
	v_mul_f32_e32 v4, 0x5f7ffffc, v4
	v_mul_f32_e32 v7, 0x2f800000, v4
	v_trunc_f32_e32 v7, v7
	v_mac_f32_e32 v4, 0xcf800000, v7
	v_cvt_u32_f32_e32 v7, v7
	v_cvt_u32_f32_e32 v4, v4
	v_mul_lo_u32 v8, s0, v7
	v_mul_hi_u32 v9, s0, v4
	v_mul_lo_u32 v11, s1, v4
	v_mul_lo_u32 v10, s0, v4
	v_add_u32_e32 v8, v9, v8
	v_add_u32_e32 v8, v8, v11
	v_mul_hi_u32 v9, v4, v10
	v_mul_lo_u32 v11, v4, v8
	v_mul_hi_u32 v13, v4, v8
	v_mul_hi_u32 v12, v7, v10
	v_mul_lo_u32 v10, v7, v10
	v_mul_hi_u32 v14, v7, v8
	v_add_co_u32_e32 v9, vcc, v9, v11
	v_addc_co_u32_e32 v11, vcc, 0, v13, vcc
	v_mul_lo_u32 v8, v7, v8
	v_add_co_u32_e32 v9, vcc, v9, v10
	v_addc_co_u32_e32 v9, vcc, v11, v12, vcc
	v_addc_co_u32_e32 v10, vcc, 0, v14, vcc
	v_add_co_u32_e32 v8, vcc, v9, v8
	v_addc_co_u32_e32 v9, vcc, 0, v10, vcc
	v_add_co_u32_e32 v4, vcc, v4, v8
	v_addc_co_u32_e32 v7, vcc, v7, v9, vcc
	v_mul_lo_u32 v8, s0, v7
	v_mul_hi_u32 v9, s0, v4
	v_mul_lo_u32 v10, s1, v4
	v_mul_lo_u32 v11, s0, v4
	v_add_u32_e32 v8, v9, v8
	v_add_u32_e32 v8, v8, v10
	v_mul_lo_u32 v12, v4, v8
	v_mul_hi_u32 v13, v4, v11
	v_mul_hi_u32 v14, v4, v8
	;; [unrolled: 1-line block ×3, first 2 shown]
	v_mul_lo_u32 v11, v7, v11
	v_mul_hi_u32 v9, v7, v8
	v_add_co_u32_e32 v12, vcc, v13, v12
	v_addc_co_u32_e32 v13, vcc, 0, v14, vcc
	v_mul_lo_u32 v8, v7, v8
	v_add_co_u32_e32 v11, vcc, v12, v11
	v_addc_co_u32_e32 v10, vcc, v13, v10, vcc
	v_addc_co_u32_e32 v9, vcc, 0, v9, vcc
	v_add_co_u32_e32 v8, vcc, v10, v8
	v_addc_co_u32_e32 v9, vcc, 0, v9, vcc
	v_add_co_u32_e32 v4, vcc, v4, v8
	v_addc_co_u32_e32 v9, vcc, v7, v9, vcc
	v_mad_u64_u32 v[7:8], s[0:1], v5, v9, 0
	v_mul_hi_u32 v10, v5, v4
	v_add_co_u32_e32 v11, vcc, v10, v7
	v_addc_co_u32_e32 v12, vcc, 0, v8, vcc
	v_mad_u64_u32 v[7:8], s[0:1], v6, v4, 0
	v_mad_u64_u32 v[9:10], s[0:1], v6, v9, 0
	v_add_co_u32_e32 v4, vcc, v11, v7
	v_addc_co_u32_e32 v4, vcc, v12, v8, vcc
	v_addc_co_u32_e32 v7, vcc, 0, v10, vcc
	v_add_co_u32_e32 v4, vcc, v4, v9
	v_addc_co_u32_e32 v9, vcc, 0, v7, vcc
	v_mul_lo_u32 v10, s21, v4
	v_mul_lo_u32 v11, s20, v9
	v_mad_u64_u32 v[7:8], s[0:1], s20, v4, 0
	v_add3_u32 v8, v8, v11, v10
	v_sub_u32_e32 v10, v6, v8
	v_mov_b32_e32 v11, s21
	v_sub_co_u32_e32 v7, vcc, v5, v7
	v_subb_co_u32_e64 v10, s[0:1], v10, v11, vcc
	v_subrev_co_u32_e64 v11, s[0:1], s20, v7
	v_subbrev_co_u32_e64 v10, s[0:1], 0, v10, s[0:1]
	v_cmp_le_u32_e64 s[0:1], s21, v10
	v_cndmask_b32_e64 v12, 0, -1, s[0:1]
	v_cmp_le_u32_e64 s[0:1], s20, v11
	v_cndmask_b32_e64 v11, 0, -1, s[0:1]
	v_cmp_eq_u32_e64 s[0:1], s21, v10
	v_cndmask_b32_e64 v10, v12, v11, s[0:1]
	v_add_co_u32_e64 v11, s[0:1], 2, v4
	v_addc_co_u32_e64 v12, s[0:1], 0, v9, s[0:1]
	v_add_co_u32_e64 v13, s[0:1], 1, v4
	v_addc_co_u32_e64 v14, s[0:1], 0, v9, s[0:1]
	v_subb_co_u32_e32 v8, vcc, v6, v8, vcc
	v_cmp_ne_u32_e64 s[0:1], 0, v10
	v_cmp_le_u32_e32 vcc, s21, v8
	v_cndmask_b32_e64 v10, v14, v12, s[0:1]
	v_cndmask_b32_e64 v12, 0, -1, vcc
	v_cmp_le_u32_e32 vcc, s20, v7
	v_cndmask_b32_e64 v7, 0, -1, vcc
	v_cmp_eq_u32_e32 vcc, s21, v8
	v_cndmask_b32_e32 v7, v12, v7, vcc
	v_cmp_ne_u32_e32 vcc, 0, v7
	v_cndmask_b32_e64 v7, v13, v11, s[0:1]
	v_cndmask_b32_e32 v8, v9, v10, vcc
	v_cndmask_b32_e32 v7, v4, v7, vcc
.LBB0_4:                                ;   in Loop: Header=BB0_2 Depth=1
	s_andn2_saveexec_b64 s[0:1], s[22:23]
	s_cbranch_execz .LBB0_6
; %bb.5:                                ;   in Loop: Header=BB0_2 Depth=1
	v_cvt_f32_u32_e32 v4, s20
	s_sub_i32 s22, 0, s20
	v_rcp_iflag_f32_e32 v4, v4
	v_mul_f32_e32 v4, 0x4f7ffffe, v4
	v_cvt_u32_f32_e32 v4, v4
	v_mul_lo_u32 v7, s22, v4
	v_mul_hi_u32 v7, v4, v7
	v_add_u32_e32 v4, v4, v7
	v_mul_hi_u32 v4, v5, v4
	v_mul_lo_u32 v7, v4, s20
	v_add_u32_e32 v8, 1, v4
	v_sub_u32_e32 v7, v5, v7
	v_subrev_u32_e32 v9, s20, v7
	v_cmp_le_u32_e32 vcc, s20, v7
	v_cndmask_b32_e32 v7, v7, v9, vcc
	v_cndmask_b32_e32 v4, v4, v8, vcc
	v_add_u32_e32 v8, 1, v4
	v_cmp_le_u32_e32 vcc, s20, v7
	v_cndmask_b32_e32 v7, v4, v8, vcc
	v_mov_b32_e32 v8, v3
.LBB0_6:                                ;   in Loop: Header=BB0_2 Depth=1
	s_or_b64 exec, exec, s[0:1]
	v_mul_lo_u32 v4, v8, s20
	v_mul_lo_u32 v11, v7, s21
	v_mad_u64_u32 v[9:10], s[0:1], v7, s20, 0
	s_load_dwordx2 s[0:1], s[6:7], 0x0
	s_add_u32 s18, s18, 1
	v_add3_u32 v4, v10, v11, v4
	v_sub_co_u32_e32 v5, vcc, v5, v9
	v_subb_co_u32_e32 v4, vcc, v6, v4, vcc
	s_waitcnt lgkmcnt(0)
	v_mul_lo_u32 v4, s0, v4
	v_mul_lo_u32 v6, s1, v5
	v_mad_u64_u32 v[1:2], s[0:1], s0, v5, v[1:2]
	s_addc_u32 s19, s19, 0
	s_add_u32 s6, s6, 8
	v_add3_u32 v2, v6, v2, v4
	v_mov_b32_e32 v4, s10
	v_mov_b32_e32 v5, s11
	s_addc_u32 s7, s7, 0
	v_cmp_ge_u64_e32 vcc, s[18:19], v[4:5]
	s_add_u32 s16, s16, 8
	s_addc_u32 s17, s17, 0
	s_cbranch_vccnz .LBB0_9
; %bb.7:                                ;   in Loop: Header=BB0_2 Depth=1
	v_mov_b32_e32 v5, v7
	v_mov_b32_e32 v6, v8
	s_branch .LBB0_2
.LBB0_8:
	v_mov_b32_e32 v8, v6
	v_mov_b32_e32 v7, v5
.LBB0_9:
	s_lshl_b64 s[0:1], s[10:11], 3
	s_add_u32 s0, s14, s0
	s_addc_u32 s1, s15, s1
	s_load_dwordx2 s[6:7], s[0:1], 0x0
	s_load_dwordx2 s[10:11], s[4:5], 0x20
                                        ; implicit-def: $vgpr5
                                        ; implicit-def: $vgpr6
                                        ; implicit-def: $vgpr9
	s_waitcnt lgkmcnt(0)
	v_mul_lo_u32 v3, s6, v8
	v_mul_lo_u32 v4, s7, v7
	v_mad_u64_u32 v[1:2], s[0:1], s6, v7, v[1:2]
	v_cmp_gt_u64_e32 vcc, s[10:11], v[7:8]
	v_cmp_le_u64_e64 s[0:1], s[10:11], v[7:8]
	v_add3_u32 v2, v4, v2, v3
                                        ; implicit-def: $vgpr8
                                        ; implicit-def: $vgpr3
	s_and_saveexec_b64 s[4:5], s[0:1]
	s_xor_b64 s[0:1], exec, s[4:5]
; %bb.10:
	v_or_b32_e32 v5, 0x100, v0
	v_or_b32_e32 v8, 0x300, v0
	;; [unrolled: 1-line block ×5, first 2 shown]
; %bb.11:
	s_or_saveexec_b64 s[4:5], s[0:1]
	v_lshlrev_b64 v[1:2], 3, v[1:2]
                                        ; implicit-def: $vgpr13
                                        ; implicit-def: $vgpr23
                                        ; implicit-def: $vgpr25
                                        ; implicit-def: $vgpr27
                                        ; implicit-def: $vgpr29
                                        ; implicit-def: $vgpr11
                                        ; implicit-def: $vgpr17
                                        ; implicit-def: $vgpr31
                                        ; implicit-def: $vgpr19
                                        ; implicit-def: $vgpr21
                                        ; implicit-def: $vgpr15
                                        ; implicit-def: $vgpr33
	s_xor_b64 exec, exec, s[4:5]
	s_cbranch_execz .LBB0_13
; %bb.12:
	v_mad_u64_u32 v[4:5], s[0:1], s2, v0, 0
	v_mov_b32_e32 v9, s13
	v_mov_b32_e32 v3, v5
	v_mad_u64_u32 v[5:6], s[0:1], s3, v0, v[3:4]
	v_or_b32_e32 v3, 0x200, v0
	v_mad_u64_u32 v[7:8], s[0:1], s2, v3, 0
	v_add_co_u32_e64 v18, s[0:1], s12, v1
	v_mov_b32_e32 v6, v8
	v_addc_co_u32_e64 v19, s[0:1], v9, v2, s[0:1]
	v_mad_u64_u32 v[8:9], s[0:1], s3, v3, v[6:7]
	v_or_b32_e32 v6, 0x400, v0
	v_mad_u64_u32 v[9:10], s[0:1], s2, v6, 0
	v_lshlrev_b64 v[4:5], 3, v[4:5]
	v_add_co_u32_e64 v34, s[0:1], v18, v4
	v_addc_co_u32_e64 v35, s[0:1], v19, v5, s[0:1]
	v_lshlrev_b64 v[4:5], 3, v[7:8]
	v_mov_b32_e32 v7, v10
	v_mad_u64_u32 v[7:8], s[0:1], s3, v6, v[7:8]
	v_or_b32_e32 v8, 0x600, v0
	v_mad_u64_u32 v[11:12], s[0:1], s2, v8, 0
	v_add_co_u32_e64 v36, s[0:1], v18, v4
	v_mov_b32_e32 v10, v7
	v_mov_b32_e32 v7, v12
	v_addc_co_u32_e64 v37, s[0:1], v19, v5, s[0:1]
	v_lshlrev_b64 v[4:5], 3, v[9:10]
	v_mad_u64_u32 v[7:8], s[0:1], s3, v8, v[7:8]
	v_or_b32_e32 v10, 0x800, v0
	v_mad_u64_u32 v[8:9], s[0:1], s2, v10, 0
	v_add_co_u32_e64 v38, s[0:1], v18, v4
	v_mov_b32_e32 v12, v7
	v_mov_b32_e32 v7, v9
	v_addc_co_u32_e64 v39, s[0:1], v19, v5, s[0:1]
	v_lshlrev_b64 v[4:5], 3, v[11:12]
	v_mad_u64_u32 v[9:10], s[0:1], s3, v10, v[7:8]
	v_or_b32_e32 v12, 0xa00, v0
	v_mad_u64_u32 v[10:11], s[0:1], s2, v12, 0
	v_add_co_u32_e64 v40, s[0:1], v18, v4
	v_mov_b32_e32 v4, v11
	v_addc_co_u32_e64 v41, s[0:1], v19, v5, s[0:1]
	v_mad_u64_u32 v[4:5], s[0:1], s3, v12, v[4:5]
	v_or_b32_e32 v5, 0x100, v0
	v_mad_u64_u32 v[12:13], s[0:1], s2, v5, 0
	v_lshlrev_b64 v[7:8], 3, v[8:9]
	v_mov_b32_e32 v11, v4
	v_add_co_u32_e64 v42, s[0:1], v18, v7
	v_mov_b32_e32 v4, v13
	v_addc_co_u32_e64 v43, s[0:1], v19, v8, s[0:1]
	v_mad_u64_u32 v[7:8], s[0:1], s3, v5, v[4:5]
	v_or_b32_e32 v8, 0x300, v0
	v_mad_u64_u32 v[14:15], s[0:1], s2, v8, 0
	v_lshlrev_b64 v[9:10], 3, v[10:11]
	v_mov_b32_e32 v13, v7
	v_add_co_u32_e64 v44, s[0:1], v18, v9
	v_or_b32_e32 v9, 0x500, v0
	v_addc_co_u32_e64 v45, s[0:1], v19, v10, s[0:1]
	v_mov_b32_e32 v4, v15
	v_mad_u64_u32 v[16:17], s[0:1], s2, v9, 0
	v_lshlrev_b64 v[10:11], 3, v[12:13]
	v_mad_u64_u32 v[12:13], s[0:1], s3, v8, v[4:5]
	v_add_co_u32_e64 v46, s[0:1], v18, v10
	v_mov_b32_e32 v4, v17
	v_addc_co_u32_e64 v47, s[0:1], v19, v11, s[0:1]
	v_mov_b32_e32 v15, v12
	v_mad_u64_u32 v[12:13], s[0:1], s3, v9, v[4:5]
	v_or_b32_e32 v7, 0x700, v0
	v_lshlrev_b64 v[10:11], 3, v[14:15]
	v_mad_u64_u32 v[13:14], s[0:1], s2, v7, 0
	v_add_co_u32_e64 v48, s[0:1], v18, v10
	v_mov_b32_e32 v4, v14
	v_addc_co_u32_e64 v49, s[0:1], v19, v11, s[0:1]
	v_mov_b32_e32 v17, v12
	v_mad_u64_u32 v[14:15], s[0:1], s3, v7, v[4:5]
	v_or_b32_e32 v7, 0x900, v0
	v_lshlrev_b64 v[10:11], 3, v[16:17]
	v_mad_u64_u32 v[15:16], s[0:1], s2, v7, 0
	v_add_co_u32_e64 v50, s[0:1], v18, v10
	v_mov_b32_e32 v4, v16
	v_addc_co_u32_e64 v51, s[0:1], v19, v11, s[0:1]
	v_lshlrev_b64 v[10:11], 3, v[13:14]
	v_mad_u64_u32 v[12:13], s[0:1], s3, v7, v[4:5]
	v_or_b32_e32 v7, 0xb00, v0
	v_mad_u64_u32 v[13:14], s[0:1], s2, v7, 0
	v_add_co_u32_e64 v52, s[0:1], v18, v10
	v_mov_b32_e32 v16, v12
	v_mov_b32_e32 v4, v14
	v_addc_co_u32_e64 v53, s[0:1], v19, v11, s[0:1]
	v_lshlrev_b64 v[10:11], 3, v[15:16]
	v_mad_u64_u32 v[14:15], s[0:1], s3, v7, v[4:5]
	v_add_co_u32_e64 v54, s[0:1], v18, v10
	v_addc_co_u32_e64 v55, s[0:1], v19, v11, s[0:1]
	v_lshlrev_b64 v[10:11], 3, v[13:14]
	v_add_co_u32_e64 v56, s[0:1], v18, v10
	v_addc_co_u32_e64 v57, s[0:1], v19, v11, s[0:1]
	global_load_dwordx2 v[12:13], v[34:35], off
	global_load_dwordx2 v[22:23], v[36:37], off
	;; [unrolled: 1-line block ×12, first 2 shown]
.LBB0_13:
	s_or_b64 exec, exec, s[4:5]
	s_waitcnt vmcnt(7)
	v_add_f32_e32 v7, v24, v26
	v_add_f32_e32 v4, v12, v24
	v_fmac_f32_e32 v12, -0.5, v7
	v_sub_f32_e32 v7, v25, v27
	v_mov_b32_e32 v36, v12
	s_waitcnt vmcnt(6)
	v_add_f32_e32 v34, v28, v32
	v_fmac_f32_e32 v36, 0xbf5db3d7, v7
	v_fmac_f32_e32 v12, 0x3f5db3d7, v7
	v_add_f32_e32 v7, v22, v32
	v_fmac_f32_e32 v22, -0.5, v34
	v_sub_f32_e32 v34, v33, v29
	v_add_f32_e32 v38, v23, v33
	v_add_f32_e32 v33, v29, v33
	v_fmac_f32_e32 v23, -0.5, v33
	v_sub_f32_e32 v32, v32, v28
	v_mov_b32_e32 v39, v23
	v_mov_b32_e32 v37, v22
	v_fmac_f32_e32 v39, 0x3f5db3d7, v32
	v_fmac_f32_e32 v23, 0xbf5db3d7, v32
	;; [unrolled: 1-line block ×4, first 2 shown]
	v_add_f32_e32 v4, v4, v26
	v_add_f32_e32 v7, v28, v7
	v_mul_f32_e32 v28, 0xbf5db3d7, v39
	v_mul_f32_e32 v40, 0xbf5db3d7, v23
	v_fmac_f32_e32 v28, 0.5, v37
	v_add_f32_e32 v32, v4, v7
	v_fmac_f32_e32 v40, -0.5, v22
	v_sub_f32_e32 v35, v4, v7
	v_mul_u32_u24_e32 v4, 6, v0
	v_add_f32_e32 v33, v36, v28
	v_add_f32_e32 v34, v12, v40
	v_lshl_add_u32 v7, v4, 2, 0
	ds_write2_b64 v7, v[32:33], v[34:35] offset1:1
	v_sub_f32_e32 v33, v12, v40
	s_waitcnt vmcnt(1)
	v_add_f32_e32 v12, v16, v18
	v_sub_f32_e32 v32, v36, v28
	v_add_f32_e32 v4, v10, v16
	v_fmac_f32_e32 v10, -0.5, v12
	ds_write_b64 v7, v[32:33] offset:16
	v_sub_f32_e32 v12, v17, v19
	v_mov_b32_e32 v28, v10
	s_waitcnt vmcnt(0)
	v_add_f32_e32 v32, v30, v20
	v_fmac_f32_e32 v28, 0xbf5db3d7, v12
	v_fmac_f32_e32 v10, 0x3f5db3d7, v12
	v_add_f32_e32 v12, v30, v14
	v_fmac_f32_e32 v14, -0.5, v32
	v_sub_f32_e32 v32, v31, v21
	v_add_f32_e32 v41, v31, v15
	v_add_f32_e32 v31, v31, v21
	v_fmac_f32_e32 v15, -0.5, v31
	v_sub_f32_e32 v30, v30, v20
	v_mov_b32_e32 v42, v15
	v_fmac_f32_e32 v15, 0xbf5db3d7, v30
	v_add_f32_e32 v4, v4, v18
	v_add_f32_e32 v12, v20, v12
	v_mov_b32_e32 v40, v14
	v_fmac_f32_e32 v14, 0x3f5db3d7, v32
	v_fmac_f32_e32 v42, 0x3f5db3d7, v30
	v_add_f32_e32 v30, v4, v12
	v_mul_f32_e32 v35, 0xbf5db3d7, v15
	v_sub_f32_e32 v33, v4, v12
	v_mul_i32_i24_e32 v4, 6, v5
	v_add_f32_e32 v12, v25, v27
	v_fmac_f32_e32 v35, -0.5, v14
	v_lshl_add_u32 v20, v4, 2, 0
	v_add_f32_e32 v4, v13, v25
	v_fmac_f32_e32 v13, -0.5, v12
	v_fmac_f32_e32 v40, 0xbf5db3d7, v32
	v_mul_f32_e32 v34, 0xbf5db3d7, v42
	v_add_f32_e32 v32, v10, v35
	v_sub_f32_e32 v24, v24, v26
	v_add_f32_e32 v4, v4, v27
	v_add_f32_e32 v27, v29, v38
	v_mul_f32_e32 v38, -0.5, v23
	v_mov_b32_e32 v12, v13
	v_sub_f32_e32 v23, v10, v35
	v_mul_f32_e32 v10, 0x3f5db3d7, v37
	v_fmac_f32_e32 v34, 0.5, v40
	v_fmac_f32_e32 v38, 0x3f5db3d7, v22
	v_fmac_f32_e32 v12, 0x3f5db3d7, v24
	;; [unrolled: 1-line block ×3, first 2 shown]
	v_fmac_f32_e32 v10, 0.5, v39
	s_movk_i32 s0, 0xffec
	v_add_f32_e32 v31, v28, v34
	v_sub_f32_e32 v22, v28, v34
	v_add_f32_e32 v25, v4, v27
	v_add_f32_e32 v26, v12, v10
	v_sub_f32_e32 v28, v4, v27
	v_add_f32_e32 v27, v13, v38
	v_mad_i32_i24 v4, v5, s0, v20
	v_sub_f32_e32 v13, v13, v38
	v_sub_f32_e32 v12, v12, v10
	v_add_f32_e32 v10, v17, v19
	ds_write2_b64 v20, v[30:31], v[32:33] offset1:1
	ds_write_b64 v20, v[22:23] offset:16
	s_waitcnt lgkmcnt(0)
	s_barrier
	v_mad_i32_i24 v22, v0, s0, v7
	v_lshl_add_u32 v23, v8, 2, 0
	v_lshl_add_u32 v24, v3, 2, 0
	ds_read_b32 v43, v4
	ds_read_b32 v44, v24
	;; [unrolled: 1-line block ×3, first 2 shown]
	ds_read_b32 v45, v22 offset:11264
	ds_read2st64_b32 v[29:30], v22 offset1:16
	ds_read2st64_b32 v[31:32], v22 offset0:20 offset1:24
	ds_read2st64_b32 v[33:34], v22 offset0:36 offset1:40
	;; [unrolled: 1-line block ×3, first 2 shown]
	s_waitcnt lgkmcnt(0)
	s_barrier
	ds_write2_b64 v7, v[25:26], v[27:28] offset1:1
	ds_write_b64 v7, v[12:13] offset:16
	v_add_f32_e32 v7, v11, v17
	v_fmac_f32_e32 v11, -0.5, v10
	v_sub_f32_e32 v12, v16, v18
	v_mul_f32_e32 v13, -0.5, v15
	v_mov_b32_e32 v17, v11
	v_add_f32_e32 v7, v7, v19
	v_add_f32_e32 v16, v21, v41
	v_fmac_f32_e32 v13, 0x3f5db3d7, v14
	v_fmac_f32_e32 v17, 0x3f5db3d7, v12
	;; [unrolled: 1-line block ×3, first 2 shown]
	v_mul_f32_e32 v12, 0x3f5db3d7, v40
	v_fmac_f32_e32 v12, 0.5, v42
	v_add_f32_e32 v10, v11, v13
	v_sub_f32_e32 v13, v11, v13
	v_sub_f32_e32 v11, v7, v16
	v_add_f32_e32 v14, v7, v16
	v_mul_lo_u16_e32 v7, 0xab, v0
	v_add_f32_e32 v15, v17, v12
	v_lshrrev_b16_e32 v21, 10, v7
	v_sub_f32_e32 v12, v17, v12
	ds_write2_b64 v20, v[14:15], v[10:11] offset1:1
	ds_write_b64 v20, v[12:13] offset:16
	v_mul_lo_u16_e32 v10, 6, v21
	v_sub_u16_e32 v41, v0, v10
	v_mov_b32_e32 v10, 3
	v_mul_u32_u24_sdwa v11, v41, v10 dst_sel:DWORD dst_unused:UNUSED_PAD src0_sel:BYTE_0 src1_sel:DWORD
	s_mov_b32 s0, 0xaaab
	v_lshlrev_b32_e32 v27, 3, v11
	v_mul_u32_u24_sdwa v11, v3, s0 dst_sel:DWORD dst_unused:UNUSED_PAD src0_sel:WORD_0 src1_sel:DWORD
	v_lshrrev_b32_e32 v42, 18, v11
	s_waitcnt lgkmcnt(0)
	s_barrier
	global_load_dwordx4 v[12:15], v27, s[8:9]
	v_mul_lo_u16_e32 v16, 6, v42
	v_sub_u16_e32 v46, v3, v16
	v_mul_lo_u16_e32 v16, 3, v46
	v_lshlrev_b32_e32 v39, 3, v16
	global_load_dwordx4 v[16:19], v39, s[8:9]
	ds_read_b32 v38, v23
	ds_read2st64_b32 v[25:26], v22 offset0:20 offset1:24
	global_load_dwordx2 v[27:28], v27, s[8:9] offset:16
	ds_read_b32 v47, v24
	ds_read_b32 v48, v4
	ds_read_b32 v49, v22 offset:11264
	global_load_dwordx2 v[39:40], v39, s[8:9] offset:16
	v_mul_u32_u24_e32 v21, 24, v21
	v_or_b32_sdwa v21, v21, v41 dst_sel:DWORD dst_unused:UNUSED_PAD src0_sel:DWORD src1_sel:BYTE_0
	v_lshl_add_u32 v21, v21, 2, 0
	s_waitcnt vmcnt(3) lgkmcnt(4)
	v_mul_f32_e32 v50, v38, v13
	v_mul_f32_e32 v13, v37, v13
	v_fmac_f32_e32 v50, v37, v12
	v_fma_f32 v51, v38, v12, -v13
	ds_read2st64_b32 v[37:38], v22 offset0:28 offset1:32
	s_waitcnt lgkmcnt(4)
	v_mul_f32_e32 v52, v26, v15
	v_mul_f32_e32 v12, v32, v15
	v_fmac_f32_e32 v52, v32, v14
	v_fma_f32 v32, v26, v14, -v12
	s_waitcnt vmcnt(2)
	v_mul_f32_e32 v12, v31, v17
	v_mul_f32_e32 v53, v25, v17
	v_fma_f32 v54, v25, v16, -v12
	v_mul_f32_e32 v12, v36, v19
	v_fmac_f32_e32 v53, v31, v16
	s_waitcnt lgkmcnt(0)
	v_mul_f32_e32 v31, v38, v19
	v_fma_f32 v19, v38, v18, -v12
	v_mul_u32_u24_sdwa v12, v5, s0 dst_sel:DWORD dst_unused:UNUSED_PAD src0_sel:WORD_0 src1_sel:DWORD
	v_fmac_f32_e32 v31, v36, v18
	v_lshrrev_b32_e32 v36, 18, v12
	v_mul_lo_u16_e32 v13, 6, v36
	v_sub_u16_e32 v38, v5, v13
	v_mul_lo_u16_e32 v13, 3, v38
	v_lshlrev_b32_e32 v25, 3, v13
	global_load_dwordx4 v[13:16], v25, s[8:9]
	global_load_dwordx2 v[17:18], v25, s[8:9] offset:16
	ds_read2st64_b32 v[25:26], v22 offset1:16
	s_waitcnt vmcnt(1)
	v_mul_f32_e32 v55, v37, v16
	v_mul_f32_e32 v16, v35, v16
	v_fmac_f32_e32 v55, v35, v15
	v_fma_f32 v15, v37, v15, -v16
	s_waitcnt lgkmcnt(0)
	v_mul_f32_e32 v16, v26, v14
	v_mul_f32_e32 v14, v30, v14
	v_fmac_f32_e32 v16, v30, v13
	v_fma_f32 v26, v26, v13, -v14
	ds_read2st64_b32 v[13:14], v22 offset0:36 offset1:40
	s_waitcnt vmcnt(0) lgkmcnt(0)
	s_barrier
	v_mul_f32_e32 v30, v13, v28
	v_fmac_f32_e32 v30, v33, v27
	v_mul_f32_e32 v28, v33, v28
	v_fma_f32 v13, v13, v27, -v28
	v_sub_f32_e32 v28, v29, v52
	v_sub_f32_e32 v30, v50, v30
	v_mul_f32_e32 v27, v14, v18
	v_fma_f32 v29, v29, 2.0, -v28
	v_sub_f32_e32 v13, v51, v13
	v_fma_f32 v33, v50, 2.0, -v30
	v_fmac_f32_e32 v27, v34, v17
	v_mul_f32_e32 v18, v34, v18
	v_sub_f32_e32 v33, v29, v33
	v_add_f32_e32 v34, v28, v13
	v_fma_f32 v29, v29, 2.0, -v33
	v_fma_f32 v28, v28, 2.0, -v34
	v_fma_f32 v14, v14, v17, -v18
	ds_write2_b32 v21, v29, v28 offset1:6
	ds_write2_b32 v21, v33, v34 offset0:12 offset1:18
	v_mul_lo_u16_e32 v28, 24, v36
	v_sub_f32_e32 v29, v43, v55
	v_sub_f32_e32 v27, v16, v27
	v_or_b32_e32 v28, v28, v38
	v_fma_f32 v33, v43, 2.0, -v29
	v_sub_f32_e32 v14, v26, v14
	v_fma_f32 v16, v16, 2.0, -v27
	v_mul_f32_e32 v17, v49, v40
	v_sub_f32_e32 v16, v33, v16
	v_add_f32_e32 v34, v29, v14
	v_and_b32_e32 v28, 0xffff, v28
	v_fmac_f32_e32 v17, v45, v39
	v_fma_f32 v33, v33, 2.0, -v16
	v_fma_f32 v29, v29, 2.0, -v34
	v_lshl_add_u32 v28, v28, 2, 0
	v_mul_f32_e32 v18, v45, v40
	ds_write2_b32 v28, v33, v29 offset1:6
	ds_write2_b32 v28, v16, v34 offset0:12 offset1:18
	v_sub_f32_e32 v29, v44, v31
	v_sub_f32_e32 v35, v53, v17
	v_fma_f32 v18, v49, v39, -v18
	v_mul_lo_u16_e32 v16, 24, v42
	v_fma_f32 v31, v44, 2.0, -v29
	v_fma_f32 v17, v53, 2.0, -v35
	v_or_b32_e32 v16, v16, v46
	v_sub_f32_e32 v36, v54, v18
	v_sub_f32_e32 v17, v31, v17
	v_fma_f32 v18, v31, 2.0, -v17
	v_add_f32_e32 v31, v29, v36
	v_and_b32_e32 v16, 0xffff, v16
	v_fma_f32 v29, v29, 2.0, -v31
	v_lshl_add_u32 v16, v16, 2, 0
	ds_write2_b32 v16, v18, v29 offset1:6
	ds_write2_b32 v16, v17, v31 offset0:12 offset1:18
	v_sub_f32_e32 v17, v25, v32
	v_fma_f32 v18, v25, 2.0, -v17
	v_fma_f32 v13, v51, 2.0, -v13
	v_sub_f32_e32 v13, v18, v13
	v_sub_f32_e32 v37, v17, v30
	v_fma_f32 v25, v18, 2.0, -v13
	v_fma_f32 v38, v17, 2.0, -v37
	s_waitcnt lgkmcnt(0)
	s_barrier
	ds_read_b32 v43, v4
	ds_read_b32 v44, v24
	;; [unrolled: 1-line block ×3, first 2 shown]
	ds_read_b32 v45, v22 offset:11264
	ds_read2st64_b32 v[17:18], v22 offset1:16
	ds_read2st64_b32 v[29:30], v22 offset0:20 offset1:24
	ds_read2st64_b32 v[31:32], v22 offset0:36 offset1:40
	;; [unrolled: 1-line block ×3, first 2 shown]
	s_waitcnt lgkmcnt(0)
	s_barrier
	ds_write2_b32 v21, v25, v38 offset1:6
	ds_write2_b32 v21, v13, v37 offset0:12 offset1:18
	v_fma_f32 v13, v26, 2.0, -v14
	v_sub_f32_e32 v14, v48, v15
	v_fma_f32 v15, v48, 2.0, -v14
	v_sub_f32_e32 v13, v15, v13
	v_sub_f32_e32 v21, v14, v27
	v_fma_f32 v15, v15, 2.0, -v13
	v_fma_f32 v14, v14, 2.0, -v21
	ds_write2_b32 v28, v15, v14 offset1:6
	ds_write2_b32 v28, v13, v21 offset0:12 offset1:18
	v_sub_f32_e32 v14, v47, v19
	v_fma_f32 v13, v54, 2.0, -v36
	v_fma_f32 v15, v47, 2.0, -v14
	v_sub_f32_e32 v13, v15, v13
	v_sub_f32_e32 v19, v14, v35
	v_fma_f32 v15, v15, 2.0, -v13
	v_fma_f32 v14, v14, 2.0, -v19
	ds_write2_b32 v16, v15, v14 offset1:6
	ds_write2_b32 v16, v13, v19 offset0:12 offset1:18
	v_lshrrev_b16_e32 v19, 12, v7
	v_mul_lo_u16_e32 v13, 24, v19
	v_sub_u16_e32 v21, v0, v13
	v_mul_u32_u24_sdwa v13, v21, v10 dst_sel:DWORD dst_unused:UNUSED_PAD src0_sel:BYTE_0 src1_sel:DWORD
	v_lshlrev_b32_e32 v37, 3, v13
	s_waitcnt lgkmcnt(0)
	s_barrier
	global_load_dwordx4 v[13:16], v37, s[8:9] offset:144
	v_lshrrev_b32_e32 v46, 20, v11
	v_mul_lo_u16_e32 v25, 24, v46
	v_sub_u16_e32 v47, v3, v25
	v_mul_lo_u16_e32 v25, 3, v47
	v_lshlrev_b32_e32 v41, 3, v25
	global_load_dwordx4 v[25:28], v41, s[8:9] offset:144
	ds_read_b32 v40, v23
	ds_read2st64_b32 v[35:36], v22 offset0:20 offset1:24
	global_load_dwordx2 v[37:38], v37, s[8:9] offset:160
	ds_read_b32 v48, v24
	ds_read_b32 v49, v4
	ds_read_b32 v50, v22 offset:11264
	global_load_dwordx2 v[41:42], v41, s[8:9] offset:160
	v_mul_u32_u24_e32 v19, 0x60, v19
	v_or_b32_sdwa v19, v19, v21 dst_sel:DWORD dst_unused:UNUSED_PAD src0_sel:DWORD src1_sel:BYTE_0
	v_lshl_add_u32 v19, v19, 2, 0
	v_lshrrev_b16_e32 v7, 14, v7
	s_waitcnt vmcnt(3) lgkmcnt(4)
	v_mul_f32_e32 v51, v40, v14
	v_mul_f32_e32 v14, v39, v14
	v_fmac_f32_e32 v51, v39, v13
	v_fma_f32 v52, v40, v13, -v14
	ds_read2st64_b32 v[39:40], v22 offset0:28 offset1:32
	s_waitcnt lgkmcnt(4)
	v_mul_f32_e32 v53, v36, v16
	v_mul_f32_e32 v13, v30, v16
	v_fmac_f32_e32 v53, v30, v15
	v_fma_f32 v30, v36, v15, -v13
	s_waitcnt vmcnt(2)
	v_mul_f32_e32 v36, v35, v26
	v_mul_f32_e32 v13, v29, v26
	v_fmac_f32_e32 v36, v29, v25
	v_fma_f32 v29, v35, v25, -v13
	s_waitcnt lgkmcnt(0)
	v_mul_f32_e32 v35, v40, v28
	v_fmac_f32_e32 v35, v34, v27
	v_mul_f32_e32 v13, v34, v28
	v_lshrrev_b32_e32 v34, 20, v12
	v_fma_f32 v40, v40, v27, -v13
	v_mul_lo_u16_e32 v13, 24, v34
	v_sub_u16_e32 v54, v5, v13
	v_mul_lo_u16_e32 v13, 3, v54
	v_lshlrev_b32_e32 v27, 3, v13
	global_load_dwordx4 v[13:16], v27, s[8:9] offset:144
	global_load_dwordx2 v[25:26], v27, s[8:9] offset:160
	ds_read2st64_b32 v[27:28], v22 offset1:16
	s_waitcnt vmcnt(1)
	v_mul_f32_e32 v55, v39, v16
	v_mul_f32_e32 v16, v33, v16
	v_fmac_f32_e32 v55, v33, v15
	v_fma_f32 v15, v39, v15, -v16
	s_waitcnt lgkmcnt(0)
	v_mul_f32_e32 v16, v28, v14
	v_mul_f32_e32 v14, v18, v14
	v_fmac_f32_e32 v16, v18, v13
	v_fma_f32 v28, v28, v13, -v14
	ds_read2st64_b32 v[13:14], v22 offset0:36 offset1:40
	s_waitcnt vmcnt(0) lgkmcnt(0)
	s_barrier
	v_mul_f32_e32 v18, v13, v38
	v_fmac_f32_e32 v18, v31, v37
	v_mul_f32_e32 v31, v31, v38
	v_fma_f32 v13, v13, v37, -v31
	v_mul_f32_e32 v31, v14, v26
	v_fmac_f32_e32 v31, v32, v25
	v_mul_f32_e32 v26, v32, v26
	v_sub_f32_e32 v32, v17, v53
	v_sub_f32_e32 v18, v51, v18
	v_fma_f32 v17, v17, 2.0, -v32
	v_sub_f32_e32 v13, v52, v13
	v_fma_f32 v21, v51, 2.0, -v18
	v_sub_f32_e32 v21, v17, v21
	v_add_f32_e32 v33, v32, v13
	v_fma_f32 v17, v17, 2.0, -v21
	v_fma_f32 v32, v32, 2.0, -v33
	v_fma_f32 v14, v14, v25, -v26
	ds_write2_b32 v19, v17, v32 offset1:24
	ds_write2_b32 v19, v21, v33 offset0:48 offset1:72
	v_mul_lo_u16_e32 v17, 0x60, v34
	v_sub_f32_e32 v21, v43, v55
	v_sub_f32_e32 v31, v16, v31
	v_or_b32_e32 v17, v17, v54
	v_fma_f32 v32, v43, 2.0, -v21
	v_sub_f32_e32 v14, v28, v14
	v_fma_f32 v16, v16, 2.0, -v31
	v_mul_f32_e32 v25, v50, v42
	v_sub_f32_e32 v16, v32, v16
	v_add_f32_e32 v33, v21, v14
	v_and_b32_e32 v17, 0xffff, v17
	v_fmac_f32_e32 v25, v45, v41
	v_mul_f32_e32 v26, v45, v42
	v_fma_f32 v32, v32, 2.0, -v16
	v_fma_f32 v21, v21, 2.0, -v33
	v_lshl_add_u32 v39, v17, 2, 0
	v_fma_f32 v26, v50, v41, -v26
	ds_write2_b32 v39, v32, v21 offset1:24
	ds_write2_b32 v39, v16, v33 offset0:48 offset1:72
	v_mul_lo_u16_e32 v16, 0x60, v46
	v_sub_f32_e32 v17, v44, v35
	v_sub_f32_e32 v25, v36, v25
	v_or_b32_e32 v16, v16, v47
	v_fma_f32 v21, v44, 2.0, -v17
	v_sub_f32_e32 v26, v29, v26
	v_fma_f32 v32, v36, 2.0, -v25
	v_sub_f32_e32 v32, v21, v32
	v_add_f32_e32 v33, v17, v26
	v_and_b32_e32 v16, 0xffff, v16
	v_fma_f32 v21, v21, 2.0, -v32
	v_fma_f32 v17, v17, 2.0, -v33
	v_lshl_add_u32 v16, v16, 2, 0
	ds_write2_b32 v16, v21, v17 offset1:24
	ds_write2_b32 v16, v32, v33 offset0:48 offset1:72
	v_sub_f32_e32 v17, v27, v30
	v_fma_f32 v21, v27, 2.0, -v17
	v_fma_f32 v13, v52, 2.0, -v13
	v_sub_f32_e32 v13, v21, v13
	v_sub_f32_e32 v27, v17, v18
	v_fma_f32 v21, v21, 2.0, -v13
	v_fma_f32 v30, v17, 2.0, -v27
	s_waitcnt lgkmcnt(0)
	s_barrier
	ds_read_b32 v45, v4
	ds_read_b32 v46, v24
	;; [unrolled: 1-line block ×3, first 2 shown]
	ds_read_b32 v50, v22 offset:11264
	ds_read2st64_b32 v[17:18], v22 offset1:16
	ds_read2st64_b32 v[33:34], v22 offset0:20 offset1:24
	ds_read2st64_b32 v[35:36], v22 offset0:36 offset1:40
	;; [unrolled: 1-line block ×3, first 2 shown]
	s_waitcnt lgkmcnt(0)
	s_barrier
	ds_write2_b32 v19, v21, v30 offset1:24
	ds_write2_b32 v19, v13, v27 offset0:48 offset1:72
	v_fma_f32 v13, v28, 2.0, -v14
	v_sub_f32_e32 v14, v49, v15
	v_fma_f32 v15, v49, 2.0, -v14
	v_sub_f32_e32 v13, v15, v13
	v_sub_f32_e32 v19, v14, v31
	v_fma_f32 v15, v15, 2.0, -v13
	v_fma_f32 v14, v14, 2.0, -v19
	ds_write2_b32 v39, v15, v14 offset1:24
	ds_write2_b32 v39, v13, v19 offset0:48 offset1:72
	v_sub_f32_e32 v14, v48, v40
	v_fma_f32 v13, v29, 2.0, -v26
	v_fma_f32 v15, v48, 2.0, -v14
	v_sub_f32_e32 v13, v15, v13
	v_sub_f32_e32 v19, v14, v25
	v_fma_f32 v15, v15, 2.0, -v13
	v_fma_f32 v14, v14, 2.0, -v19
	ds_write2_b32 v16, v15, v14 offset1:24
	ds_write2_b32 v16, v13, v19 offset0:48 offset1:72
	v_mul_lo_u16_e32 v13, 0x60, v7
	v_sub_u16_e32 v19, v0, v13
	v_mul_u32_u24_sdwa v10, v19, v10 dst_sel:DWORD dst_unused:UNUSED_PAD src0_sel:BYTE_0 src1_sel:DWORD
	v_lshlrev_b32_e32 v21, 3, v10
	s_waitcnt lgkmcnt(0)
	s_barrier
	global_load_dwordx4 v[13:16], v21, s[8:9] offset:720
	v_lshrrev_b32_e32 v48, 22, v11
	v_mul_lo_u16_e32 v10, 0x60, v48
	v_sub_u16_e32 v49, v3, v10
	v_mul_lo_u16_e32 v10, 3, v49
	v_lshlrev_b32_e32 v43, 3, v10
	global_load_dwordx4 v[25:28], v43, s[8:9] offset:720
	v_lshrrev_b32_e32 v51, 22, v12
	v_mul_lo_u16_e32 v10, 0x60, v51
	v_sub_u16_e32 v52, v5, v10
	v_mul_lo_u16_e32 v10, 3, v52
	v_lshlrev_b32_e32 v12, 3, v10
	global_load_dwordx4 v[29:32], v12, s[8:9] offset:720
	global_load_dwordx2 v[10:11], v21, s[8:9] offset:736
	global_load_dwordx2 v[39:40], v12, s[8:9] offset:736
	;; [unrolled: 1-line block ×3, first 2 shown]
	ds_read_b32 v12, v23
	ds_read2st64_b32 v[43:44], v22 offset0:20 offset1:24
	ds_read_b32 v21, v24
	ds_read_b32 v53, v4
	ds_read_b32 v54, v22 offset:11264
	v_mul_u32_u24_e32 v7, 0x180, v7
	v_or_b32_sdwa v7, v7, v19 dst_sel:DWORD dst_unused:UNUSED_PAD src0_sel:DWORD src1_sel:BYTE_0
	v_lshl_add_u32 v7, v7, 2, 0
	s_waitcnt vmcnt(5) lgkmcnt(4)
	v_mul_f32_e32 v55, v12, v14
	v_mul_f32_e32 v14, v47, v14
	v_fmac_f32_e32 v55, v47, v13
	v_fma_f32 v47, v12, v13, -v14
	s_waitcnt lgkmcnt(3)
	v_mul_f32_e32 v56, v44, v16
	v_mul_f32_e32 v12, v34, v16
	v_fmac_f32_e32 v56, v34, v15
	v_fma_f32 v34, v44, v15, -v12
	ds_read2st64_b32 v[12:13], v22 offset0:28 offset1:32
	s_waitcnt vmcnt(4)
	v_mul_f32_e32 v44, v43, v26
	v_mul_f32_e32 v14, v33, v26
	v_fmac_f32_e32 v44, v33, v25
	v_fma_f32 v25, v43, v25, -v14
	s_waitcnt lgkmcnt(0)
	v_mul_f32_e32 v26, v13, v28
	v_mul_f32_e32 v14, v38, v28
	v_fmac_f32_e32 v26, v38, v27
	v_fma_f32 v27, v13, v27, -v14
	ds_read2st64_b32 v[13:14], v22 offset1:16
	s_waitcnt vmcnt(3)
	v_mul_f32_e32 v15, v37, v32
	v_mul_f32_e32 v28, v12, v32
	v_fma_f32 v12, v12, v31, -v15
	ds_read2st64_b32 v[15:16], v22 offset0:36 offset1:40
	v_fmac_f32_e32 v28, v37, v31
	s_waitcnt lgkmcnt(1)
	v_mul_f32_e32 v31, v14, v30
	v_fmac_f32_e32 v31, v18, v29
	v_mul_f32_e32 v18, v18, v30
	v_fma_f32 v14, v14, v29, -v18
	s_waitcnt vmcnt(2) lgkmcnt(0)
	v_mul_f32_e32 v18, v15, v11
	v_fmac_f32_e32 v18, v35, v10
	v_mul_f32_e32 v11, v35, v11
	v_fma_f32 v10, v15, v10, -v11
	v_sub_f32_e32 v30, v17, v56
	v_sub_f32_e32 v18, v55, v18
	v_fma_f32 v17, v17, 2.0, -v30
	v_sub_f32_e32 v10, v47, v10
	v_fma_f32 v19, v55, 2.0, -v18
	v_sub_f32_e32 v19, v17, v19
	v_add_f32_e32 v32, v30, v10
	s_waitcnt vmcnt(1)
	v_mul_f32_e32 v11, v16, v40
	v_fma_f32 v17, v17, 2.0, -v19
	v_fma_f32 v30, v30, 2.0, -v32
	v_fmac_f32_e32 v11, v36, v39
	v_mul_f32_e32 v15, v36, v40
	s_waitcnt vmcnt(0)
	s_barrier
	ds_write2_b32 v7, v17, v30 offset1:96
	v_add_u32_e32 v17, 0x200, v7
	v_fma_f32 v15, v16, v39, -v15
	ds_write2_b32 v17, v19, v32 offset0:64 offset1:160
	v_mul_lo_u16_e32 v19, 0x180, v51
	v_sub_f32_e32 v28, v45, v28
	v_sub_f32_e32 v11, v31, v11
	v_or_b32_e32 v19, v19, v52
	v_fma_f32 v30, v45, 2.0, -v28
	v_sub_f32_e32 v15, v14, v15
	v_fma_f32 v31, v31, 2.0, -v11
	v_mul_f32_e32 v16, v54, v42
	v_sub_f32_e32 v31, v30, v31
	v_add_f32_e32 v32, v28, v15
	v_and_b32_e32 v19, 0xffff, v19
	v_fmac_f32_e32 v16, v50, v41
	v_mul_f32_e32 v29, v50, v42
	v_fma_f32 v30, v30, 2.0, -v31
	v_fma_f32 v28, v28, 2.0, -v32
	v_lshl_add_u32 v19, v19, 2, 0
	v_fma_f32 v29, v54, v41, -v29
	ds_write2_b32 v19, v30, v28 offset1:96
	v_add_u32_e32 v28, 0x200, v19
	v_mul_lo_u16_e32 v30, 0x180, v48
	v_sub_f32_e32 v26, v46, v26
	v_sub_f32_e32 v16, v44, v16
	ds_write2_b32 v28, v31, v32 offset0:64 offset1:160
	v_or_b32_e32 v30, v30, v49
	v_fma_f32 v31, v46, 2.0, -v26
	v_sub_f32_e32 v37, v25, v29
	v_fma_f32 v29, v44, 2.0, -v16
	v_sub_f32_e32 v29, v31, v29
	v_add_f32_e32 v32, v26, v37
	v_and_b32_e32 v30, 0xffff, v30
	v_fma_f32 v31, v31, 2.0, -v29
	v_fma_f32 v26, v26, 2.0, -v32
	v_lshl_add_u32 v38, v30, 2, 0
	ds_write2_b32 v38, v31, v26 offset1:96
	v_add_u32_e32 v26, 0x200, v38
	ds_write2_b32 v26, v29, v32 offset0:64 offset1:160
	v_sub_f32_e32 v29, v13, v34
	v_fma_f32 v13, v13, 2.0, -v29
	v_fma_f32 v10, v47, 2.0, -v10
	v_sub_f32_e32 v10, v13, v10
	v_sub_f32_e32 v18, v29, v18
	v_fma_f32 v13, v13, 2.0, -v10
	v_fma_f32 v39, v29, 2.0, -v18
	s_waitcnt lgkmcnt(0)
	s_barrier
	ds_read_b32 v45, v4
	ds_read_b32 v46, v24
	;; [unrolled: 1-line block ×3, first 2 shown]
	ds_read_b32 v48, v22 offset:11264
	ds_read2st64_b32 v[29:30], v22 offset1:16
	ds_read2st64_b32 v[31:32], v22 offset0:20 offset1:24
	ds_read2st64_b32 v[33:34], v22 offset0:36 offset1:40
	;; [unrolled: 1-line block ×3, first 2 shown]
	s_waitcnt lgkmcnt(0)
	s_barrier
	ds_write2_b32 v7, v13, v39 offset1:96
	ds_write2_b32 v17, v10, v18 offset0:64 offset1:160
	v_sub_f32_e32 v10, v53, v12
	v_fma_f32 v7, v14, 2.0, -v15
	v_fma_f32 v12, v53, 2.0, -v10
	v_sub_f32_e32 v7, v12, v7
	v_sub_f32_e32 v11, v10, v11
	v_fma_f32 v12, v12, 2.0, -v7
	v_fma_f32 v10, v10, 2.0, -v11
	ds_write2_b32 v19, v12, v10 offset1:96
	ds_write2_b32 v28, v7, v11 offset0:64 offset1:160
	v_sub_f32_e32 v7, v21, v27
	v_fma_f32 v10, v21, 2.0, -v7
	v_fma_f32 v11, v25, 2.0, -v37
	v_sub_f32_e32 v11, v10, v11
	v_sub_f32_e32 v12, v7, v16
	v_fma_f32 v10, v10, 2.0, -v11
	v_fma_f32 v7, v7, 2.0, -v12
	ds_write2_b32 v38, v10, v7 offset1:96
	ds_write2_b32 v26, v11, v12 offset0:64 offset1:160
	v_mul_u32_u24_e32 v7, 3, v0
	v_lshlrev_b32_e32 v7, 3, v7
	v_mov_b32_e32 v21, s9
	v_add_co_u32_e64 v43, s[0:1], s8, v7
	v_addc_co_u32_e64 v44, s[0:1], 0, v21, s[0:1]
	s_movk_i32 s0, 0x1000
	s_waitcnt lgkmcnt(0)
	s_barrier
	global_load_dwordx4 v[12:15], v7, s[8:9] offset:3024
	v_add_co_u32_e64 v10, s[0:1], s0, v43
	v_addc_co_u32_e64 v11, s[0:1], 0, v44, s[0:1]
	global_load_dwordx4 v[16:19], v[10:11], off offset:2000
	s_movk_i32 s0, 0x180
	v_add_u32_e32 v10, 0xffffff80, v0
	v_cmp_gt_u32_e64 s[0:1], s0, v5
	v_cndmask_b32_e64 v49, v10, v5, s[0:1]
	v_mov_b32_e32 v11, 0
	v_mul_i32_i24_e32 v10, 3, v49
	v_lshlrev_b64 v[25:26], 3, v[10:11]
	v_add_co_u32_e64 v37, s[0:1], s8, v25
	v_addc_co_u32_e64 v38, s[0:1], v21, v26, s[0:1]
	global_load_dwordx4 v[25:28], v[37:38], off offset:3024
	global_load_dwordx2 v[39:40], v7, s[8:9] offset:3040
	global_load_dwordx2 v[41:42], v[37:38], off offset:3040
	s_movk_i32 s0, 0x17d0
	v_add_co_u32_e64 v37, s[0:1], s0, v43
	v_addc_co_u32_e64 v38, s[0:1], 0, v44, s[0:1]
	global_load_dwordx2 v[37:38], v[37:38], off offset:16
	ds_read_b32 v7, v23
	ds_read2st64_b32 v[43:44], v22 offset0:20 offset1:24
	ds_read_b32 v10, v24
	ds_read_b32 v50, v4
	ds_read_b32 v21, v22 offset:11264
	s_movk_i32 s0, 0x17f
	v_cmp_lt_u32_e64 s[0:1], s0, v5
	s_waitcnt vmcnt(5) lgkmcnt(4)
	v_mul_f32_e32 v51, v7, v13
	v_mul_f32_e32 v13, v47, v13
	v_fmac_f32_e32 v51, v47, v12
	v_fma_f32 v7, v7, v12, -v13
	s_waitcnt lgkmcnt(3)
	v_mul_f32_e32 v47, v44, v15
	v_mul_f32_e32 v12, v32, v15
	v_fmac_f32_e32 v47, v32, v14
	v_fma_f32 v32, v44, v14, -v12
	ds_read2st64_b32 v[12:13], v22 offset0:28 offset1:32
	s_waitcnt vmcnt(4)
	v_mul_f32_e32 v44, v43, v17
	v_mul_f32_e32 v14, v31, v17
	v_fmac_f32_e32 v44, v31, v16
	v_fma_f32 v31, v43, v16, -v14
	s_waitcnt lgkmcnt(0)
	v_mul_f32_e32 v17, v13, v19
	v_mul_f32_e32 v14, v36, v19
	v_fmac_f32_e32 v17, v36, v18
	v_fma_f32 v36, v13, v18, -v14
	s_waitcnt vmcnt(3)
	v_mul_f32_e32 v18, v12, v28
	ds_read2st64_b32 v[13:14], v22 offset1:16
	v_mul_f32_e32 v15, v35, v28
	v_fmac_f32_e32 v18, v35, v27
	v_fma_f32 v35, v12, v27, -v15
	ds_read2st64_b32 v[15:16], v22 offset0:36 offset1:40
	s_waitcnt lgkmcnt(1)
	v_mul_f32_e32 v12, v14, v26
	v_mul_f32_e32 v19, v30, v26
	v_fmac_f32_e32 v12, v30, v25
	v_fma_f32 v30, v14, v25, -v19
	s_waitcnt vmcnt(2) lgkmcnt(0)
	v_mul_f32_e32 v14, v15, v40
	v_fmac_f32_e32 v14, v33, v39
	v_mul_f32_e32 v19, v33, v40
	s_waitcnt vmcnt(1)
	v_mul_f32_e32 v25, v34, v42
	s_waitcnt vmcnt(0)
	v_mul_f32_e32 v26, v48, v38
	v_fma_f32 v15, v15, v39, -v19
	v_mul_f32_e32 v19, v16, v42
	v_fma_f32 v16, v16, v41, -v25
	;; [unrolled: 2-line block ×3, first 2 shown]
	v_sub_f32_e32 v26, v29, v47
	v_sub_f32_e32 v14, v51, v14
	v_fma_f32 v27, v29, 2.0, -v26
	v_sub_f32_e32 v15, v7, v15
	v_fma_f32 v28, v51, 2.0, -v14
	v_sub_f32_e32 v28, v27, v28
	v_add_f32_e32 v29, v26, v15
	v_fmac_f32_e32 v19, v34, v41
	v_fma_f32 v27, v27, 2.0, -v28
	v_fma_f32 v26, v26, 2.0, -v29
	s_barrier
	ds_write2st64_b32 v22, v27, v26 offset1:6
	ds_write2st64_b32 v22, v28, v29 offset0:12 offset1:18
	v_mov_b32_e32 v26, 0x600
	v_sub_f32_e32 v18, v45, v18
	v_sub_f32_e32 v33, v12, v19
	v_cndmask_b32_e64 v26, 0, v26, s[0:1]
	v_fma_f32 v27, v45, 2.0, -v18
	v_sub_f32_e32 v34, v30, v16
	v_fma_f32 v12, v12, 2.0, -v33
	v_or_b32_e32 v26, v26, v49
	v_sub_f32_e32 v12, v27, v12
	v_add_f32_e32 v19, v18, v34
	v_fmac_f32_e32 v25, v48, v37
	v_fma_f32 v16, v27, 2.0, -v12
	v_fma_f32 v18, v18, 2.0, -v19
	v_lshl_add_u32 v37, v26, 2, 0
	ds_write2st64_b32 v37, v16, v18 offset1:6
	ds_write2st64_b32 v37, v12, v19 offset0:12 offset1:18
	v_sub_f32_e32 v12, v46, v17
	v_sub_f32_e32 v38, v44, v25
	v_fma_f32 v16, v46, 2.0, -v12
	v_fma_f32 v17, v44, 2.0, -v38
	v_sub_f32_e32 v17, v16, v17
	v_fma_f32 v16, v16, 2.0, -v17
	v_sub_f32_e32 v39, v31, v21
	ds_write_b32 v22, v16 offset:6656
	v_add_f32_e32 v16, v12, v39
	v_fma_f32 v12, v12, 2.0, -v16
	v_lshl_add_u32 v40, v0, 2, 0
	ds_write2st64_b32 v40, v12, v17 offset0:32 offset1:38
	v_sub_f32_e32 v12, v13, v32
	v_fma_f32 v13, v13, 2.0, -v12
	v_fma_f32 v7, v7, 2.0, -v15
	v_sub_f32_e32 v7, v13, v7
	v_sub_f32_e32 v41, v12, v14
	v_fma_f32 v32, v13, 2.0, -v7
	v_fma_f32 v42, v12, 2.0, -v41
	ds_write_b32 v40, v16 offset:11264
	s_waitcnt lgkmcnt(0)
	s_barrier
	v_lshl_add_u32 v27, v6, 2, 0
	v_lshl_add_u32 v29, v9, 2, 0
	ds_read_b32 v18, v4
	ds_read_b32 v26, v29
	;; [unrolled: 1-line block ×5, first 2 shown]
	ds_read_b32 v28, v22 offset:11264
	ds_read2st64_b32 v[12:13], v22 offset1:24
	ds_read2st64_b32 v[14:15], v22 offset0:28 offset1:32
	ds_read2st64_b32 v[16:17], v22 offset0:36 offset1:40
	s_waitcnt lgkmcnt(0)
	s_barrier
	ds_write2st64_b32 v22, v32, v42 offset1:6
	ds_write2st64_b32 v22, v7, v41 offset0:12 offset1:18
	v_sub_f32_e32 v7, v50, v35
	v_fma_f32 v4, v30, 2.0, -v34
	v_fma_f32 v30, v50, 2.0, -v7
	v_sub_f32_e32 v4, v30, v4
	v_sub_f32_e32 v32, v7, v33
	v_fma_f32 v30, v30, 2.0, -v4
	v_fma_f32 v7, v7, 2.0, -v32
	ds_write2st64_b32 v37, v30, v7 offset1:6
	ds_write2st64_b32 v37, v4, v32 offset0:12 offset1:18
	v_sub_f32_e32 v7, v10, v36
	v_fma_f32 v4, v31, 2.0, -v39
	v_fma_f32 v10, v10, 2.0, -v7
	v_sub_f32_e32 v4, v10, v4
	v_fma_f32 v10, v10, 2.0, -v4
	v_sub_f32_e32 v30, v7, v38
	v_fma_f32 v7, v7, 2.0, -v30
	ds_write_b32 v22, v10 offset:6656
	ds_write2st64_b32 v40, v7, v4 offset0:32 offset1:38
	ds_write_b32 v40, v30 offset:11264
	s_waitcnt lgkmcnt(0)
	s_barrier
	s_and_saveexec_b64 s[0:1], vcc
	s_cbranch_execz .LBB0_15
; %bb.14:
	v_mov_b32_e32 v10, v11
	v_lshlrev_b64 v[9:10], 3, v[9:10]
	v_mov_b32_e32 v34, s9
	v_add_co_u32_e32 v4, vcc, s8, v9
	v_addc_co_u32_e32 v7, vcc, v34, v10, vcc
	v_add_co_u32_e32 v9, vcc, 0x2000, v4
	v_addc_co_u32_e32 v10, vcc, 0, v7, vcc
	v_mov_b32_e32 v7, v11
	v_lshlrev_b64 v[6:7], 3, v[6:7]
	s_movk_i32 s0, 0x2000
	v_add_co_u32_e32 v4, vcc, s8, v6
	v_addc_co_u32_e32 v7, vcc, v34, v7, vcc
	v_add_co_u32_e32 v6, vcc, s0, v4
	v_addc_co_u32_e32 v7, vcc, 0, v7, vcc
	global_load_dwordx2 v[30:31], v[9:10], off offset:4048
	global_load_dwordx2 v[32:33], v[6:7], off offset:4048
	v_mov_b32_e32 v9, v11
	v_lshlrev_b64 v[6:7], 3, v[8:9]
	v_add_co_u32_e32 v4, vcc, s8, v6
	v_addc_co_u32_e32 v7, vcc, v34, v7, vcc
	v_add_co_u32_e32 v6, vcc, s0, v4
	v_mov_b32_e32 v4, v11
	v_lshlrev_b64 v[3:4], 3, v[3:4]
	v_addc_co_u32_e32 v7, vcc, 0, v7, vcc
	v_add_co_u32_e32 v3, vcc, s8, v3
	v_addc_co_u32_e32 v4, vcc, v34, v4, vcc
	v_add_co_u32_e32 v3, vcc, s0, v3
	v_addc_co_u32_e32 v4, vcc, 0, v4, vcc
	global_load_dwordx2 v[7:8], v[6:7], off offset:4048
	s_nop 0
	global_load_dwordx2 v[3:4], v[3:4], off offset:4048
	v_mov_b32_e32 v6, v11
	v_lshlrev_b64 v[9:10], 3, v[5:6]
	v_add_co_u32_e32 v6, vcc, s8, v9
	v_addc_co_u32_e32 v10, vcc, v34, v10, vcc
	v_add_co_u32_e32 v9, vcc, s0, v6
	v_addc_co_u32_e32 v10, vcc, 0, v10, vcc
	global_load_dwordx2 v[9:10], v[9:10], off offset:4048
	v_lshlrev_b32_e32 v6, 3, v0
	v_add_co_u32_e32 v6, vcc, s8, v6
	v_addc_co_u32_e32 v11, vcc, 0, v34, vcc
	v_add_co_u32_e32 v34, vcc, s0, v6
	v_addc_co_u32_e32 v35, vcc, 0, v11, vcc
	global_load_dwordx2 v[34:35], v[34:35], off offset:4048
	v_mul_i32_i24_e32 v11, 0xffffffec, v5
	ds_read2st64_b32 v[5:6], v22 offset0:36 offset1:40
	ds_read_b32 v36, v22 offset:11264
	ds_read_b32 v37, v23
	ds_read_b32 v29, v29
	;; [unrolled: 1-line block ×4, first 2 shown]
	s_waitcnt vmcnt(5)
	v_mul_f32_e32 v23, v28, v31
	s_waitcnt lgkmcnt(4)
	v_mul_f32_e32 v27, v36, v31
	s_waitcnt vmcnt(4)
	v_mul_f32_e32 v31, v6, v33
	v_mul_f32_e32 v24, v17, v33
	v_fma_f32 v23, v30, v36, -v23
	v_fmac_f32_e32 v27, v28, v30
	v_fmac_f32_e32 v31, v17, v32
	v_fma_f32 v6, v32, v6, -v24
	s_waitcnt lgkmcnt(2)
	v_sub_f32_e32 v24, v29, v23
	v_sub_f32_e32 v23, v26, v27
	;; [unrolled: 1-line block ×3, first 2 shown]
	ds_read2st64_b32 v[31:32], v22 offset0:28 offset1:32
	s_waitcnt lgkmcnt(2)
	v_sub_f32_e32 v28, v38, v6
	v_fma_f32 v30, v29, 2.0, -v24
	v_fma_f32 v29, v26, 2.0, -v23
	;; [unrolled: 1-line block ×4, first 2 shown]
	s_waitcnt vmcnt(3)
	v_mul_f32_e32 v6, v16, v8
	v_fma_f32 v6, v7, v5, -v6
	v_mul_f32_e32 v5, v5, v8
	v_fmac_f32_e32 v5, v16, v7
	s_waitcnt vmcnt(2)
	v_mul_f32_e32 v7, v15, v4
	s_waitcnt lgkmcnt(0)
	v_mul_f32_e32 v4, v32, v4
	v_fma_f32 v7, v3, v32, -v7
	v_fmac_f32_e32 v4, v15, v3
	v_add_u32_e32 v3, v20, v11
	ds_read_b32 v3, v3
	v_sub_f32_e32 v8, v39, v7
	v_sub_f32_e32 v7, v19, v4
	v_fma_f32 v20, v19, 2.0, -v7
	v_sub_f32_e32 v5, v21, v5
	s_waitcnt vmcnt(1)
	v_mul_f32_e32 v4, v14, v10
	v_fma_f32 v4, v9, v31, -v4
	s_waitcnt lgkmcnt(0)
	v_sub_f32_e32 v4, v3, v4
	v_fma_f32 v11, v3, 2.0, -v4
	v_mul_f32_e32 v3, v31, v10
	ds_read2st64_b32 v[31:32], v22 offset1:24
	v_fmac_f32_e32 v3, v14, v9
	v_mad_u64_u32 v[14:15], s[0:1], s2, v0, 0
	v_sub_f32_e32 v3, v18, v3
	s_waitcnt vmcnt(0)
	v_mul_f32_e32 v9, v13, v35
	v_fma_f32 v10, v18, 2.0, -v3
	s_waitcnt lgkmcnt(0)
	v_fma_f32 v9, v34, v32, -v9
	v_mul_f32_e32 v18, v32, v35
	v_sub_f32_e32 v19, v31, v9
	v_mov_b32_e32 v9, v15
	v_fmac_f32_e32 v18, v13, v34
	v_fma_f32 v33, v31, 2.0, -v19
	v_mad_u64_u32 v[31:32], s[0:1], s3, v0, v[9:10]
	v_sub_f32_e32 v18, v12, v18
	v_or_b32_e32 v22, 0x600, v0
	v_fma_f32 v32, v12, 2.0, -v18
	v_mad_u64_u32 v[12:13], s[0:1], s2, v22, 0
	v_mov_b32_e32 v15, v31
	v_mov_b32_e32 v9, s13
	v_add_co_u32_e32 v31, vcc, s12, v1
	v_addc_co_u32_e32 v34, vcc, v9, v2, vcc
	v_mov_b32_e32 v9, v13
	v_lshlrev_b64 v[1:2], 3, v[14:15]
	v_mad_u64_u32 v[13:14], s[0:1], s3, v22, v[9:10]
	v_add_co_u32_e32 v1, vcc, v31, v1
	v_addc_co_u32_e32 v2, vcc, v34, v2, vcc
	v_or_b32_e32 v14, 0x100, v0
	global_store_dwordx2 v[1:2], v[32:33], off
	v_lshlrev_b64 v[1:2], 3, v[12:13]
	v_mad_u64_u32 v[12:13], s[0:1], s2, v14, 0
	v_add_co_u32_e32 v1, vcc, v31, v1
	v_mov_b32_e32 v9, v13
	v_mad_u64_u32 v[13:14], s[0:1], s3, v14, v[9:10]
	v_addc_co_u32_e32 v2, vcc, v34, v2, vcc
	v_or_b32_e32 v22, 0x700, v0
	v_mad_u64_u32 v[14:15], s[0:1], s2, v22, 0
	global_store_dwordx2 v[1:2], v[18:19], off
	v_lshlrev_b64 v[1:2], 3, v[12:13]
	v_mov_b32_e32 v9, v15
	v_add_co_u32_e32 v1, vcc, v31, v1
	v_addc_co_u32_e32 v2, vcc, v34, v2, vcc
	global_store_dwordx2 v[1:2], v[10:11], off
	v_or_b32_e32 v11, 0x200, v0
	v_mad_u64_u32 v[12:13], s[0:1], s3, v22, v[9:10]
	v_mad_u64_u32 v[9:10], s[0:1], s2, v11, 0
	v_mov_b32_e32 v15, v12
	v_or_b32_e32 v13, 0x800, v0
	v_mad_u64_u32 v[10:11], s[0:1], s3, v11, v[10:11]
	v_lshlrev_b64 v[1:2], 3, v[14:15]
	v_mad_u64_u32 v[11:12], s[0:1], s2, v13, 0
	v_add_co_u32_e32 v1, vcc, v31, v1
	v_addc_co_u32_e32 v2, vcc, v34, v2, vcc
	global_store_dwordx2 v[1:2], v[3:4], off
	v_mov_b32_e32 v3, v12
	v_mad_u64_u32 v[3:4], s[0:1], s3, v13, v[3:4]
	v_lshlrev_b64 v[1:2], 3, v[9:10]
	v_or_b32_e32 v9, 0x300, v0
	v_mov_b32_e32 v12, v3
	v_mad_u64_u32 v[3:4], s[0:1], s2, v9, 0
	v_add_co_u32_e32 v1, vcc, v31, v1
	v_fma_f32 v16, v21, 2.0, -v5
	v_fma_f32 v21, v39, 2.0, -v8
	v_addc_co_u32_e32 v2, vcc, v34, v2, vcc
	global_store_dwordx2 v[1:2], v[20:21], off
	v_lshlrev_b64 v[1:2], 3, v[11:12]
	v_mad_u64_u32 v[9:10], s[0:1], s3, v9, v[4:5]
	v_or_b32_e32 v12, 0x900, v0
	v_mad_u64_u32 v[10:11], s[0:1], s2, v12, 0
	v_add_co_u32_e32 v1, vcc, v31, v1
	v_addc_co_u32_e32 v2, vcc, v34, v2, vcc
	v_mov_b32_e32 v4, v9
	global_store_dwordx2 v[1:2], v[7:8], off
	v_lshlrev_b64 v[1:2], 3, v[3:4]
	v_mov_b32_e32 v3, v11
	v_mad_u64_u32 v[3:4], s[0:1], s3, v12, v[3:4]
	v_or_b32_e32 v7, 0x400, v0
	v_sub_f32_e32 v6, v37, v6
	v_mov_b32_e32 v11, v3
	v_mad_u64_u32 v[3:4], s[0:1], s2, v7, 0
	v_add_co_u32_e32 v1, vcc, v31, v1
	v_fma_f32 v17, v37, 2.0, -v6
	v_addc_co_u32_e32 v2, vcc, v34, v2, vcc
	global_store_dwordx2 v[1:2], v[16:17], off
	v_lshlrev_b64 v[1:2], 3, v[10:11]
	v_mad_u64_u32 v[7:8], s[0:1], s3, v7, v[4:5]
	v_or_b32_e32 v10, 0xa00, v0
	v_mad_u64_u32 v[8:9], s[0:1], s2, v10, 0
	v_add_co_u32_e32 v1, vcc, v31, v1
	v_addc_co_u32_e32 v2, vcc, v34, v2, vcc
	v_mov_b32_e32 v4, v7
	global_store_dwordx2 v[1:2], v[5:6], off
	v_lshlrev_b64 v[1:2], 3, v[3:4]
	v_mov_b32_e32 v3, v9
	v_mad_u64_u32 v[3:4], s[0:1], s3, v10, v[3:4]
	v_or_b32_e32 v5, 0x500, v0
	v_add_co_u32_e32 v1, vcc, v31, v1
	v_mov_b32_e32 v9, v3
	v_mad_u64_u32 v[3:4], s[0:1], s2, v5, 0
	v_addc_co_u32_e32 v2, vcc, v34, v2, vcc
	v_mad_u64_u32 v[4:5], s[0:1], s3, v5, v[4:5]
	v_or_b32_e32 v7, 0xb00, v0
	global_store_dwordx2 v[1:2], v[25:26], off
	v_lshlrev_b64 v[1:2], 3, v[8:9]
	v_mad_u64_u32 v[5:6], s[0:1], s2, v7, 0
	v_add_co_u32_e32 v1, vcc, v31, v1
	v_addc_co_u32_e32 v2, vcc, v34, v2, vcc
	global_store_dwordx2 v[1:2], v[27:28], off
	v_mov_b32_e32 v2, v6
	v_lshlrev_b64 v[0:1], 3, v[3:4]
	v_mad_u64_u32 v[2:3], s[0:1], s3, v7, v[2:3]
	v_add_co_u32_e32 v0, vcc, v31, v0
	v_addc_co_u32_e32 v1, vcc, v34, v1, vcc
	v_mov_b32_e32 v6, v2
	global_store_dwordx2 v[0:1], v[29:30], off
	v_lshlrev_b64 v[0:1], 3, v[5:6]
	v_add_co_u32_e32 v0, vcc, v31, v0
	v_addc_co_u32_e32 v1, vcc, v34, v1, vcc
	global_store_dwordx2 v[0:1], v[23:24], off
.LBB0_15:
	s_endpgm
	.section	.rodata,"a",@progbits
	.p2align	6, 0x0
	.amdhsa_kernel fft_rtc_back_len3072_factors_6_4_4_4_4_2_wgs_256_tpt_256_halfLds_sp_ip_CI_sbrr_dirReg
		.amdhsa_group_segment_fixed_size 0
		.amdhsa_private_segment_fixed_size 0
		.amdhsa_kernarg_size 88
		.amdhsa_user_sgpr_count 6
		.amdhsa_user_sgpr_private_segment_buffer 1
		.amdhsa_user_sgpr_dispatch_ptr 0
		.amdhsa_user_sgpr_queue_ptr 0
		.amdhsa_user_sgpr_kernarg_segment_ptr 1
		.amdhsa_user_sgpr_dispatch_id 0
		.amdhsa_user_sgpr_flat_scratch_init 0
		.amdhsa_user_sgpr_private_segment_size 0
		.amdhsa_uses_dynamic_stack 0
		.amdhsa_system_sgpr_private_segment_wavefront_offset 0
		.amdhsa_system_sgpr_workgroup_id_x 1
		.amdhsa_system_sgpr_workgroup_id_y 0
		.amdhsa_system_sgpr_workgroup_id_z 0
		.amdhsa_system_sgpr_workgroup_info 0
		.amdhsa_system_vgpr_workitem_id 0
		.amdhsa_next_free_vgpr 58
		.amdhsa_next_free_sgpr 24
		.amdhsa_reserve_vcc 1
		.amdhsa_reserve_flat_scratch 0
		.amdhsa_float_round_mode_32 0
		.amdhsa_float_round_mode_16_64 0
		.amdhsa_float_denorm_mode_32 3
		.amdhsa_float_denorm_mode_16_64 3
		.amdhsa_dx10_clamp 1
		.amdhsa_ieee_mode 1
		.amdhsa_fp16_overflow 0
		.amdhsa_exception_fp_ieee_invalid_op 0
		.amdhsa_exception_fp_denorm_src 0
		.amdhsa_exception_fp_ieee_div_zero 0
		.amdhsa_exception_fp_ieee_overflow 0
		.amdhsa_exception_fp_ieee_underflow 0
		.amdhsa_exception_fp_ieee_inexact 0
		.amdhsa_exception_int_div_zero 0
	.end_amdhsa_kernel
	.text
.Lfunc_end0:
	.size	fft_rtc_back_len3072_factors_6_4_4_4_4_2_wgs_256_tpt_256_halfLds_sp_ip_CI_sbrr_dirReg, .Lfunc_end0-fft_rtc_back_len3072_factors_6_4_4_4_4_2_wgs_256_tpt_256_halfLds_sp_ip_CI_sbrr_dirReg
                                        ; -- End function
	.section	.AMDGPU.csdata,"",@progbits
; Kernel info:
; codeLenInByte = 7840
; NumSgprs: 28
; NumVgprs: 58
; ScratchSize: 0
; MemoryBound: 0
; FloatMode: 240
; IeeeMode: 1
; LDSByteSize: 0 bytes/workgroup (compile time only)
; SGPRBlocks: 3
; VGPRBlocks: 14
; NumSGPRsForWavesPerEU: 28
; NumVGPRsForWavesPerEU: 58
; Occupancy: 4
; WaveLimiterHint : 1
; COMPUTE_PGM_RSRC2:SCRATCH_EN: 0
; COMPUTE_PGM_RSRC2:USER_SGPR: 6
; COMPUTE_PGM_RSRC2:TRAP_HANDLER: 0
; COMPUTE_PGM_RSRC2:TGID_X_EN: 1
; COMPUTE_PGM_RSRC2:TGID_Y_EN: 0
; COMPUTE_PGM_RSRC2:TGID_Z_EN: 0
; COMPUTE_PGM_RSRC2:TIDIG_COMP_CNT: 0
	.type	__hip_cuid_14b83d41b14cd8f6,@object ; @__hip_cuid_14b83d41b14cd8f6
	.section	.bss,"aw",@nobits
	.globl	__hip_cuid_14b83d41b14cd8f6
__hip_cuid_14b83d41b14cd8f6:
	.byte	0                               ; 0x0
	.size	__hip_cuid_14b83d41b14cd8f6, 1

	.ident	"AMD clang version 19.0.0git (https://github.com/RadeonOpenCompute/llvm-project roc-6.4.0 25133 c7fe45cf4b819c5991fe208aaa96edf142730f1d)"
	.section	".note.GNU-stack","",@progbits
	.addrsig
	.addrsig_sym __hip_cuid_14b83d41b14cd8f6
	.amdgpu_metadata
---
amdhsa.kernels:
  - .args:
      - .actual_access:  read_only
        .address_space:  global
        .offset:         0
        .size:           8
        .value_kind:     global_buffer
      - .offset:         8
        .size:           8
        .value_kind:     by_value
      - .actual_access:  read_only
        .address_space:  global
        .offset:         16
        .size:           8
        .value_kind:     global_buffer
      - .actual_access:  read_only
        .address_space:  global
        .offset:         24
        .size:           8
        .value_kind:     global_buffer
      - .offset:         32
        .size:           8
        .value_kind:     by_value
      - .actual_access:  read_only
        .address_space:  global
        .offset:         40
        .size:           8
        .value_kind:     global_buffer
      - .actual_access:  read_only
        .address_space:  global
        .offset:         48
        .size:           8
        .value_kind:     global_buffer
      - .offset:         56
        .size:           4
        .value_kind:     by_value
      - .actual_access:  read_only
        .address_space:  global
        .offset:         64
        .size:           8
        .value_kind:     global_buffer
      - .actual_access:  read_only
        .address_space:  global
        .offset:         72
        .size:           8
        .value_kind:     global_buffer
      - .address_space:  global
        .offset:         80
        .size:           8
        .value_kind:     global_buffer
    .group_segment_fixed_size: 0
    .kernarg_segment_align: 8
    .kernarg_segment_size: 88
    .language:       OpenCL C
    .language_version:
      - 2
      - 0
    .max_flat_workgroup_size: 256
    .name:           fft_rtc_back_len3072_factors_6_4_4_4_4_2_wgs_256_tpt_256_halfLds_sp_ip_CI_sbrr_dirReg
    .private_segment_fixed_size: 0
    .sgpr_count:     28
    .sgpr_spill_count: 0
    .symbol:         fft_rtc_back_len3072_factors_6_4_4_4_4_2_wgs_256_tpt_256_halfLds_sp_ip_CI_sbrr_dirReg.kd
    .uniform_work_group_size: 1
    .uses_dynamic_stack: false
    .vgpr_count:     58
    .vgpr_spill_count: 0
    .wavefront_size: 64
amdhsa.target:   amdgcn-amd-amdhsa--gfx906
amdhsa.version:
  - 1
  - 2
...

	.end_amdgpu_metadata
